;; amdgpu-corpus repo=ROCm/rocFFT kind=compiled arch=gfx1201 opt=O3
	.text
	.amdgcn_target "amdgcn-amd-amdhsa--gfx1201"
	.amdhsa_code_object_version 6
	.protected	bluestein_single_fwd_len88_dim1_sp_op_CI_CI ; -- Begin function bluestein_single_fwd_len88_dim1_sp_op_CI_CI
	.globl	bluestein_single_fwd_len88_dim1_sp_op_CI_CI
	.p2align	8
	.type	bluestein_single_fwd_len88_dim1_sp_op_CI_CI,@function
bluestein_single_fwd_len88_dim1_sp_op_CI_CI: ; @bluestein_single_fwd_len88_dim1_sp_op_CI_CI
; %bb.0:
	s_load_b128 s[8:11], s[0:1], 0x28
	v_mul_u32_u24_e32 v1, 0x1746, v0
	s_mov_b32 s2, exec_lo
	s_delay_alu instid0(VALU_DEP_1) | instskip(NEXT) | instid1(VALU_DEP_1)
	v_lshrrev_b32_e32 v1, 16, v1
	v_mad_co_u64_u32 v[32:33], null, ttmp9, 11, v[1:2]
	v_mov_b32_e32 v33, 0
	s_wait_kmcnt 0x0
	s_delay_alu instid0(VALU_DEP_1)
	v_cmpx_gt_u64_e64 s[8:9], v[32:33]
	s_cbranch_execz .LBB0_15
; %bb.1:
	v_mul_hi_u32 v2, 0xba2e8ba3, v32
	v_mul_lo_u16 v1, v1, 11
	s_clause 0x1
	s_load_b64 s[12:13], s[0:1], 0x0
	s_load_b64 s[8:9], s[0:1], 0x38
	s_delay_alu instid0(VALU_DEP_1) | instskip(NEXT) | instid1(VALU_DEP_3)
	v_sub_nc_u16 v0, v0, v1
	v_lshrrev_b32_e32 v2, 3, v2
	s_delay_alu instid0(VALU_DEP_2) | instskip(SKIP_1) | instid1(VALU_DEP_3)
	v_and_b32_e32 v39, 0xffff, v0
	v_cmp_gt_u16_e32 vcc_lo, 8, v0
	v_mul_lo_u32 v2, v2, 11
	s_delay_alu instid0(VALU_DEP_3)
	v_lshlrev_b32_e32 v50, 3, v39
	v_or_b32_e32 v40, 8, v39
	v_or_b32_e32 v41, 16, v39
	;; [unrolled: 1-line block ×4, first 2 shown]
	v_sub_nc_u32_e32 v1, v32, v2
	v_or_b32_e32 v44, 40, v39
	v_or_b32_e32 v45, 48, v39
	;; [unrolled: 1-line block ×4, first 2 shown]
	v_mul_u32_u24_e32 v26, 0x58, v1
	v_or_b32_e32 v48, 0x48, v39
	v_or_b32_e32 v49, 0x50, v39
	s_delay_alu instid0(VALU_DEP_3) | instskip(NEXT) | instid1(VALU_DEP_1)
	v_or_b32_e32 v0, v26, v39
	v_lshlrev_b32_e32 v51, 3, v0
	s_and_saveexec_b32 s3, vcc_lo
	s_cbranch_execz .LBB0_3
; %bb.2:
	s_load_b64 s[4:5], s[0:1], 0x18
	s_wait_kmcnt 0x0
	s_load_b128 s[4:7], s[4:5], 0x0
	s_clause 0x3
	global_load_b64 v[0:1], v50, s[12:13]
	global_load_b64 v[2:3], v50, s[12:13] offset:64
	global_load_b64 v[4:5], v50, s[12:13] offset:128
	;; [unrolled: 1-line block ×3, first 2 shown]
	s_wait_kmcnt 0x0
	v_mad_co_u64_u32 v[8:9], null, s6, v32, 0
	v_mad_co_u64_u32 v[10:11], null, s4, v39, 0
	;; [unrolled: 1-line block ×5, first 2 shown]
	s_delay_alu instid0(VALU_DEP_4) | instskip(NEXT) | instid1(VALU_DEP_4)
	v_mad_co_u64_u32 v[27:28], null, s7, v32, v[9:10]
	v_mad_co_u64_u32 v[28:29], null, s5, v39, v[11:12]
	s_delay_alu instid0(VALU_DEP_4) | instskip(NEXT) | instid1(VALU_DEP_4)
	v_mad_co_u64_u32 v[29:30], null, s5, v40, v[13:14]
	v_mad_co_u64_u32 v[30:31], null, s5, v41, v[15:16]
	;; [unrolled: 1-line block ×3, first 2 shown]
	v_mov_b32_e32 v9, v27
	v_mad_co_u64_u32 v[20:21], null, s4, v44, 0
	v_mov_b32_e32 v13, v29
	v_mov_b32_e32 v15, v30
	s_delay_alu instid0(VALU_DEP_4) | instskip(SKIP_3) | instid1(VALU_DEP_4)
	v_lshlrev_b64_e32 v[8:9], 3, v[8:9]
	v_mad_co_u64_u32 v[30:31], null, s4, v48, 0
	v_mov_b32_e32 v11, v28
	v_mad_co_u64_u32 v[33:34], null, s5, v42, v[17:18]
	v_add_co_u32 v60, s2, s10, v8
	s_delay_alu instid0(VALU_DEP_3)
	v_lshlrev_b64_e32 v[10:11], 3, v[10:11]
	v_lshlrev_b64_e32 v[12:13], 3, v[12:13]
	v_add_co_ci_u32_e64 v61, s2, s11, v9, s2
	v_mov_b32_e32 v17, v33
	v_lshlrev_b64_e32 v[14:15], 3, v[14:15]
	v_add_co_u32 v10, s2, v60, v10
	s_wait_alu 0xf1ff
	v_add_co_ci_u32_e64 v11, s2, v61, v11, s2
	v_lshlrev_b64_e32 v[8:9], 3, v[16:17]
	v_add_co_u32 v12, s2, v60, v12
	s_wait_alu 0xf1ff
	v_add_co_ci_u32_e64 v13, s2, v61, v13, s2
	v_add_co_u32 v14, s2, v60, v14
	s_wait_alu 0xf1ff
	v_add_co_ci_u32_e64 v15, s2, v61, v15, s2
	v_add_co_u32 v8, s2, v60, v8
	s_wait_alu 0xf1ff
	v_add_co_ci_u32_e64 v9, s2, v61, v9, s2
	s_clause 0x3
	global_load_b64 v[10:11], v[10:11], off
	global_load_b64 v[12:13], v[12:13], off
	;; [unrolled: 1-line block ×4, first 2 shown]
	v_mad_co_u64_u32 v[22:23], null, s4, v45, 0
	v_mad_co_u64_u32 v[34:35], null, s5, v43, v[19:20]
	;; [unrolled: 1-line block ×3, first 2 shown]
	s_delay_alu instid0(VALU_DEP_3) | instskip(NEXT) | instid1(VALU_DEP_3)
	v_mad_co_u64_u32 v[35:36], null, s5, v44, v[21:22]
	v_mov_b32_e32 v19, v34
	s_delay_alu instid0(VALU_DEP_1) | instskip(NEXT) | instid1(VALU_DEP_3)
	v_lshlrev_b64_e32 v[16:17], 3, v[18:19]
	v_mov_b32_e32 v21, v35
	v_mad_co_u64_u32 v[18:19], null, s5, v45, v[23:24]
	v_mov_b32_e32 v19, v25
	s_delay_alu instid0(VALU_DEP_4) | instskip(SKIP_3) | instid1(VALU_DEP_4)
	v_add_co_u32 v16, s2, v60, v16
	s_wait_alu 0xf1ff
	v_add_co_ci_u32_e64 v17, s2, v61, v17, s2
	s_wait_loadcnt 0x3
	v_dual_mov_b32 v23, v18 :: v_dual_mul_f32 v64, v11, v1
	s_wait_loadcnt 0x1
	v_mul_f32_e32 v66, v14, v5
	v_lshlrev_b64_e32 v[20:21], 3, v[20:21]
	s_wait_loadcnt 0x0
	v_dual_mul_f32 v67, v8, v7 :: v_dual_fmac_f32 v64, v10, v0
	s_delay_alu instid0(VALU_DEP_2) | instskip(SKIP_4) | instid1(VALU_DEP_4)
	v_mad_co_u64_u32 v[27:28], null, s5, v46, v[19:20]
	v_mad_co_u64_u32 v[28:29], null, s4, v47, 0
	v_add_co_u32 v18, s2, v60, v20
	s_wait_alu 0xf1ff
	v_add_co_ci_u32_e64 v19, s2, v61, v21, s2
	v_mov_b32_e32 v25, v27
	v_lshlrev_b64_e32 v[20:21], 3, v[22:23]
	v_mov_b32_e32 v22, v29
	s_delay_alu instid0(VALU_DEP_3) | instskip(SKIP_1) | instid1(VALU_DEP_4)
	v_lshlrev_b64_e32 v[23:24], 3, v[24:25]
	v_lshl_add_u32 v25, v26, 3, v50
	v_add_co_u32 v20, s2, v60, v20
	s_wait_alu 0xf1ff
	v_add_co_ci_u32_e64 v21, s2, v61, v21, s2
	s_delay_alu instid0(VALU_DEP_4)
	v_mad_co_u64_u32 v[33:34], null, s5, v47, v[22:23]
	v_mov_b32_e32 v22, v31
	v_add_co_u32 v23, s2, v60, v23
	s_wait_alu 0xf1ff
	v_add_co_ci_u32_e64 v24, s2, v61, v24, s2
	v_mad_co_u64_u32 v[34:35], null, s4, v49, 0
	s_delay_alu instid0(VALU_DEP_3)
	v_mad_co_u64_u32 v[36:37], null, s5, v48, v[22:23]
	s_clause 0x3
	global_load_b64 v[16:17], v[16:17], off
	global_load_b64 v[18:19], v[18:19], off
	global_load_b64 v[20:21], v[20:21], off
	global_load_b64 v[23:24], v[23:24], off
	s_clause 0x3
	global_load_b64 v[52:53], v50, s[12:13] offset:256
	global_load_b64 v[54:55], v50, s[12:13] offset:320
	global_load_b64 v[56:57], v50, s[12:13] offset:384
	global_load_b64 v[58:59], v50, s[12:13] offset:448
	v_dual_mov_b32 v22, v35 :: v_dual_mov_b32 v31, v36
	s_wait_loadcnt 0x2
	v_dual_mul_f32 v68, v16, v53 :: v_dual_mul_f32 v69, v18, v55
	s_delay_alu instid0(VALU_DEP_2) | instskip(SKIP_4) | instid1(VALU_DEP_3)
	v_mad_co_u64_u32 v[37:38], null, s5, v49, v[22:23]
	s_wait_loadcnt 0x0
	v_dual_mul_f32 v22, v24, v59 :: v_dual_mov_b32 v29, v33
	v_mul_f32_e32 v38, v12, v3
	v_dual_mul_f32 v70, v20, v57 :: v_dual_mul_f32 v59, v23, v59
	v_fmac_f32_e32 v22, v23, v58
	s_delay_alu instid0(VALU_DEP_4)
	v_lshlrev_b64_e32 v[27:28], 3, v[28:29]
	v_mov_b32_e32 v35, v37
	v_lshlrev_b64_e32 v[29:30], 3, v[30:31]
	global_load_b64 v[36:37], v50, s[12:13] offset:512
	v_mul_f32_e32 v31, v10, v1
	v_mul_f32_e32 v1, v13, v3
	v_add_co_u32 v27, s2, v60, v27
	v_lshlrev_b64_e32 v[33:34], 3, v[34:35]
	s_wait_alu 0xf1ff
	v_add_co_ci_u32_e64 v28, s2, v61, v28, s2
	v_add_co_u32 v29, s2, v60, v29
	s_wait_alu 0xf1ff
	v_add_co_ci_u32_e64 v30, s2, v61, v30, s2
	v_add_co_u32 v33, s2, v60, v33
	s_wait_alu 0xf1ff
	v_add_co_ci_u32_e64 v34, s2, v61, v34, s2
	s_clause 0x1
	global_load_b64 v[27:28], v[27:28], off
	global_load_b64 v[29:30], v[29:30], off
	s_clause 0x1
	global_load_b64 v[60:61], v50, s[12:13] offset:576
	global_load_b64 v[62:63], v50, s[12:13] offset:640
	global_load_b64 v[33:34], v[33:34], off
	v_mul_f32_e32 v3, v15, v5
	v_mul_f32_e32 v5, v9, v7
	;; [unrolled: 1-line block ×5, first 2 shown]
	v_fma_f32 v65, v11, v0, -v31
	v_fmac_f32_e32 v1, v12, v2
	v_fma_f32 v2, v13, v2, -v38
	v_fmac_f32_e32 v3, v14, v4
	v_fma_f32 v4, v15, v4, -v66
	v_fmac_f32_e32 v5, v8, v6
	v_fma_f32 v6, v9, v6, -v67
	v_fmac_f32_e32 v7, v16, v52
	v_fma_f32 v8, v17, v52, -v68
	v_fmac_f32_e32 v53, v18, v54
	v_fma_f32 v54, v19, v54, -v69
	v_fmac_f32_e32 v55, v20, v56
	v_fma_f32 v56, v21, v56, -v70
	v_fma_f32 v23, v24, v58, -v59
	s_wait_loadcnt 0x4
	v_mul_f32_e32 v35, v28, v37
	v_mul_f32_e32 v71, v27, v37
	s_wait_loadcnt 0x2
	v_mul_f32_e32 v37, v30, v61
	v_mul_f32_e32 v61, v29, v61
	;; [unrolled: 3-line block ×3, first 2 shown]
	v_fmac_f32_e32 v35, v27, v36
	v_fma_f32 v36, v28, v36, -v71
	v_fmac_f32_e32 v37, v29, v60
	v_fma_f32 v38, v30, v60, -v61
	;; [unrolled: 2-line block ×3, first 2 shown]
	ds_store_b64 v51, v[64:65]
	ds_store_2addr_b64 v25, v[1:2], v[3:4] offset0:8 offset1:16
	ds_store_2addr_b64 v25, v[5:6], v[7:8] offset0:24 offset1:32
	;; [unrolled: 1-line block ×5, first 2 shown]
.LBB0_3:
	s_or_b32 exec_lo, exec_lo, s3
	s_load_b64 s[2:3], s[0:1], 0x20
	v_mov_b32_e32 v24, 0
	v_dual_mov_b32 v25, 0 :: v_dual_lshlrev_b32 v52, 3, v26
	global_wb scope:SCOPE_SE
	s_wait_dscnt 0x0
	s_wait_kmcnt 0x0
	s_barrier_signal -1
	s_barrier_wait -1
	global_inv scope:SCOPE_SE
                                        ; implicit-def: $vgpr8
                                        ; implicit-def: $vgpr4
                                        ; implicit-def: $vgpr14
                                        ; implicit-def: $vgpr18
                                        ; implicit-def: $vgpr22
	s_and_saveexec_b32 s4, vcc_lo
	s_cbranch_execz .LBB0_5
; %bb.4:
	v_lshl_add_u32 v0, v39, 3, v52
	ds_load_b64 v[24:25], v51
	ds_load_2addr_b64 v[20:23], v0 offset0:8 offset1:16
	ds_load_2addr_b64 v[16:19], v0 offset0:24 offset1:32
	;; [unrolled: 1-line block ×5, first 2 shown]
.LBB0_5:
	s_wait_alu 0xfffe
	s_or_b32 exec_lo, exec_lo, s4
	s_wait_dscnt 0x0
	v_dual_sub_f32 v75, v21, v7 :: v_dual_add_f32 v28, v7, v21
	v_sub_f32_e32 v79, v20, v6
	s_load_b64 s[0:1], s[0:1], 0x8
	global_wb scope:SCOPE_SE
	v_dual_mul_f32 v36, 0xbf0a6770, v75 :: v_dual_add_f32 v27, v6, v20
	v_mul_f32_e32 v62, 0xbf68dda4, v79
	v_dual_mul_f32 v63, 0xbf7d64f0, v75 :: v_dual_sub_f32 v80, v23, v5
	v_mul_f32_e32 v59, 0xbf68dda4, v75
	s_delay_alu instid0(VALU_DEP_4)
	v_fmamk_f32 v0, v27, 0x3f575c64, v36
	v_mul_f32_e32 v37, 0xbf0a6770, v79
	v_fma_f32 v3, 0x3ed4b147, v28, -v62
	v_dual_fmamk_f32 v29, v27, 0xbe11bafb, v63 :: v_dual_sub_f32 v86, v22, v4
	v_mul_f32_e32 v76, 0xbf7d64f0, v79
	v_fmamk_f32 v2, v27, 0x3ed4b147, v59
	v_add_f32_e32 v0, v0, v24
	s_delay_alu instid0(VALU_DEP_4) | instskip(SKIP_4) | instid1(VALU_DEP_4)
	v_add_f32_e32 v31, v29, v24
	v_fma_f32 v1, 0x3f575c64, v28, -v37
	v_add_f32_e32 v3, v3, v25
	v_fma_f32 v33, 0xbe11bafb, v28, -v76
	v_dual_add_f32 v29, v4, v22 :: v_dual_add_f32 v30, v5, v23
	v_dual_mul_f32 v54, 0xbf68dda4, v80 :: v_dual_add_f32 v1, v1, v25
	s_delay_alu instid0(VALU_DEP_3) | instskip(SKIP_2) | instid1(VALU_DEP_4)
	v_dual_add_f32 v33, v33, v25 :: v_dual_add_f32 v2, v2, v24
	v_mul_f32_e32 v56, 0xbf68dda4, v86
	v_mul_f32_e32 v65, 0xbf4178ce, v80
	v_fmamk_f32 v34, v29, 0x3ed4b147, v54
	v_mul_f32_e32 v67, 0xbf4178ce, v86
	v_dual_mul_f32 v69, 0x3e903f40, v80 :: v_dual_sub_f32 v92, v16, v10
	v_fma_f32 v35, 0x3ed4b147, v30, -v56
	v_fmamk_f32 v38, v29, 0xbf27a4f4, v65
	v_add_f32_e32 v0, v34, v0
	v_fma_f32 v53, 0xbf27a4f4, v30, -v67
	v_mul_f32_e32 v81, 0x3e903f40, v86
	v_add_f32_e32 v1, v35, v1
	v_dual_sub_f32 v87, v17, v11 :: v_dual_mul_f32 v72, 0x3e903f40, v92
	s_delay_alu instid0(VALU_DEP_4) | instskip(SKIP_4) | instid1(VALU_DEP_4)
	v_dual_add_f32 v3, v53, v3 :: v_dual_mul_f32 v60, 0xbf7d64f0, v92
	v_dual_add_f32 v35, v11, v17 :: v_dual_add_f32 v2, v38, v2
	v_fma_f32 v38, 0xbf75a155, v30, -v81
	v_fmamk_f32 v34, v29, 0xbf75a155, v69
	v_mul_f32_e32 v57, 0xbf7d64f0, v87
	v_fma_f32 v55, 0xbe11bafb, v35, -v60
	s_delay_alu instid0(VALU_DEP_4) | instskip(NEXT) | instid1(VALU_DEP_4)
	v_dual_mul_f32 v70, 0x3e903f40, v87 :: v_dual_add_f32 v33, v38, v33
	v_add_f32_e32 v34, v34, v31
	v_add_f32_e32 v31, v10, v16
	s_delay_alu instid0(VALU_DEP_4) | instskip(SKIP_2) | instid1(VALU_DEP_4)
	v_add_f32_e32 v1, v55, v1
	v_fma_f32 v61, 0xbf75a155, v35, -v72
	v_dual_mul_f32 v73, 0x3f68dda4, v87 :: v_dual_sub_f32 v90, v18, v8
	v_fmamk_f32 v58, v31, 0xbf75a155, v70
	v_dual_sub_f32 v89, v19, v9 :: v_dual_mul_f32 v84, 0x3f68dda4, v92
	s_delay_alu instid0(VALU_DEP_4) | instskip(NEXT) | instid1(VALU_DEP_3)
	v_add_f32_e32 v3, v61, v3
	v_dual_fmamk_f32 v53, v31, 0xbe11bafb, v57 :: v_dual_add_f32 v2, v58, v2
	v_dual_add_f32 v38, v8, v18 :: v_dual_add_f32 v55, v9, v19
	s_delay_alu instid0(VALU_DEP_4) | instskip(SKIP_1) | instid1(VALU_DEP_4)
	v_fma_f32 v58, 0x3ed4b147, v35, -v84
	v_mul_f32_e32 v66, 0xbf4178ce, v90
	v_dual_add_f32 v0, v53, v0 :: v_dual_fmamk_f32 v53, v31, 0x3ed4b147, v73
	v_dual_mul_f32 v74, 0x3f7d64f0, v89 :: v_dual_sub_f32 v93, v13, v15
	s_delay_alu instid0(VALU_DEP_4) | instskip(NEXT) | instid1(VALU_DEP_4)
	v_add_f32_e32 v33, v58, v33
	v_fma_f32 v68, 0xbf27a4f4, v55, -v66
	s_delay_alu instid0(VALU_DEP_3) | instskip(SKIP_1) | instid1(VALU_DEP_3)
	v_dual_add_f32 v34, v53, v34 :: v_dual_fmamk_f32 v53, v38, 0xbe11bafb, v74
	v_mul_f32_e32 v64, 0xbf4178ce, v89
	v_dual_mul_f32 v78, 0x3f7d64f0, v90 :: v_dual_add_f32 v1, v68, v1
	v_mul_f32_e32 v88, 0xbf0a6770, v90
	s_delay_alu instid0(VALU_DEP_4) | instskip(NEXT) | instid1(VALU_DEP_4)
	v_add_f32_e32 v53, v53, v2
	v_dual_fmamk_f32 v61, v38, 0xbf27a4f4, v64 :: v_dual_sub_f32 v94, v12, v14
	s_delay_alu instid0(VALU_DEP_4) | instskip(SKIP_2) | instid1(VALU_DEP_4)
	v_fma_f32 v2, 0xbe11bafb, v55, -v78
	v_mul_f32_e32 v82, 0xbf0a6770, v89
	v_add_f32_e32 v58, v14, v12
	v_dual_add_f32 v0, v61, v0 :: v_dual_mul_f32 v77, 0x3f0a6770, v93
	s_delay_alu instid0(VALU_DEP_4) | instskip(NEXT) | instid1(VALU_DEP_4)
	v_add_f32_e32 v95, v2, v3
	v_fmamk_f32 v61, v38, 0x3f575c64, v82
	v_mul_f32_e32 v85, 0xbf4178ce, v93
	s_wait_kmcnt 0x0
	s_barrier_signal -1
	s_barrier_wait -1
	global_inv scope:SCOPE_SE
	v_dual_add_f32 v34, v61, v34 :: v_dual_add_f32 v61, v15, v13
	v_fma_f32 v71, 0x3f575c64, v55, -v88
	s_delay_alu instid0(VALU_DEP_1) | instskip(SKIP_4) | instid1(VALU_DEP_3)
	v_dual_add_f32 v96, v71, v33 :: v_dual_mul_f32 v71, 0xbe903f40, v94
	v_fmamk_f32 v33, v58, 0x3f575c64, v77
	v_mul_f32_e32 v83, 0x3f0a6770, v94
	v_mul_f32_e32 v91, 0xbf4178ce, v94
	v_fmamk_f32 v98, v58, 0xbf27a4f4, v85
	v_fma_f32 v97, 0x3f575c64, v61, -v83
	v_mul_f32_e32 v68, 0xbe903f40, v93
	s_delay_alu instid0(VALU_DEP_4) | instskip(NEXT) | instid1(VALU_DEP_2)
	v_fma_f32 v99, 0xbf27a4f4, v61, -v91
	v_fmamk_f32 v2, v58, 0xbf75a155, v68
	s_delay_alu instid0(VALU_DEP_1) | instskip(SKIP_1) | instid1(VALU_DEP_1)
	v_add_f32_e32 v2, v2, v0
	v_fma_f32 v0, 0xbf75a155, v61, -v71
	v_add_f32_e32 v3, v0, v1
	v_add_f32_e32 v0, v33, v53
	;; [unrolled: 1-line block ×3, first 2 shown]
	v_dual_add_f32 v33, v98, v34 :: v_dual_add_f32 v34, v99, v96
	v_mul_lo_u16 v53, v39, 11
	s_and_saveexec_b32 s4, vcc_lo
	s_cbranch_execz .LBB0_7
; %bb.6:
	v_mul_f32_e32 v95, 0xbe903f40, v75
	v_mul_f32_e32 v97, 0xbf75a155, v28
	;; [unrolled: 1-line block ×5, first 2 shown]
	v_dual_fmamk_f32 v110, v27, 0xbf75a155, v95 :: v_dual_mul_f32 v109, 0xbf75a155, v29
	v_dual_mul_f32 v118, 0xbe11bafb, v61 :: v_dual_mul_f32 v121, 0xbe11bafb, v31
	v_dual_mul_f32 v103, 0xbe11bafb, v27 :: v_dual_mul_f32 v104, 0xbe11bafb, v28
	s_delay_alu instid0(VALU_DEP_3) | instskip(SKIP_4) | instid1(VALU_DEP_4)
	v_add_f32_e32 v110, v110, v24
	v_mul_f32_e32 v111, 0x3f0a6770, v80
	v_mul_f32_e32 v80, 0x3f7d64f0, v80
	v_dual_mul_f32 v107, 0xbf27a4f4, v29 :: v_dual_mul_f32 v108, 0xbf27a4f4, v30
	v_add_f32_e32 v76, v76, v104
	v_fmamk_f32 v114, v29, 0x3f575c64, v111
	v_dual_mul_f32 v101, 0x3ed4b147, v27 :: v_dual_mul_f32 v102, 0x3ed4b147, v28
	v_dual_mul_f32 v104, 0xbe11bafb, v38 :: v_dual_sub_f32 v69, v109, v69
	s_delay_alu instid0(VALU_DEP_3)
	v_add_f32_e32 v110, v114, v110
	v_fmamk_f32 v114, v31, 0xbf27a4f4, v115
	v_mul_f32_e32 v117, 0x3f68dda4, v89
	v_fma_f32 v111, 0x3f575c64, v29, -v111
	v_mul_f32_e32 v89, 0xbe903f40, v89
	v_add_f32_e32 v76, v76, v25
	v_add_f32_e32 v110, v114, v110
	v_fmamk_f32 v114, v38, 0x3ed4b147, v117
	v_dual_add_f32 v62, v62, v102 :: v_dual_sub_f32 v65, v107, v65
	v_dual_mul_f32 v99, 0x3f575c64, v27 :: v_dual_mul_f32 v100, 0x3f575c64, v28
	s_delay_alu instid0(VALU_DEP_3)
	v_add_f32_e32 v110, v114, v110
	v_fmamk_f32 v114, v58, 0xbe11bafb, v119
	v_fmamk_f32 v96, v79, 0x3e903f40, v97
	v_fmac_f32_e32 v97, 0xbe903f40, v79
	v_mul_f32_e32 v98, 0x3f575c64, v30
	v_dual_mul_f32 v105, 0x3ed4b147, v29 :: v_dual_mul_f32 v106, 0x3ed4b147, v30
	s_delay_alu instid0(VALU_DEP_4) | instskip(NEXT) | instid1(VALU_DEP_3)
	v_add_f32_e32 v96, v96, v25
	v_dual_add_f32 v97, v97, v25 :: v_dual_fmamk_f32 v112, v86, 0xbf0a6770, v98
	v_mul_f32_e32 v113, 0xbf27a4f4, v35
	v_fmac_f32_e32 v98, 0x3f0a6770, v86
	v_mul_f32_e32 v86, 0x3f7d64f0, v86
	s_delay_alu instid0(VALU_DEP_4) | instskip(NEXT) | instid1(VALU_DEP_3)
	v_dual_mul_f32 v93, 0x3f68dda4, v93 :: v_dual_add_f32 v96, v112, v96
	v_dual_fmamk_f32 v112, v92, 0x3f4178ce, v113 :: v_dual_add_f32 v97, v98, v97
	v_fmac_f32_e32 v113, 0xbf4178ce, v92
	v_dual_mul_f32 v92, 0xbf0a6770, v92 :: v_dual_mul_f32 v87, 0xbf0a6770, v87
	s_delay_alu instid0(VALU_DEP_3) | instskip(NEXT) | instid1(VALU_DEP_3)
	v_add_f32_e32 v96, v112, v96
	v_dual_fmamk_f32 v112, v90, 0xbf68dda4, v116 :: v_dual_add_f32 v97, v113, v97
	v_mul_f32_e32 v79, 0xbf4178ce, v79
	v_fmac_f32_e32 v116, 0x3f68dda4, v90
	v_dual_mul_f32 v90, 0xbe903f40, v90 :: v_dual_add_f32 v67, v67, v108
	s_delay_alu instid0(VALU_DEP_4) | instskip(SKIP_4) | instid1(VALU_DEP_4)
	v_add_f32_e32 v96, v112, v96
	v_fmamk_f32 v112, v94, 0x3f7d64f0, v118
	v_mul_f32_e32 v113, 0x3ed4b147, v35
	v_dual_add_f32 v97, v116, v97 :: v_dual_fmac_f32 v118, 0xbf7d64f0, v94
	v_dual_add_f32 v21, v21, v25 :: v_dual_add_f32 v20, v20, v24
	v_add_f32_e32 v96, v112, v96
	v_fma_f32 v112, 0xbf75a155, v27, -v95
	v_dual_add_f32 v84, v84, v113 :: v_dual_mul_f32 v113, 0x3f575c64, v55
	v_sub_f32_e32 v63, v103, v63
	s_delay_alu instid0(VALU_DEP_3) | instskip(SKIP_1) | instid1(VALU_DEP_3)
	v_dual_sub_f32 v59, v101, v59 :: v_dual_add_f32 v112, v112, v24
	v_dual_mul_f32 v103, 0x3f575c64, v61 :: v_dual_sub_f32 v36, v99, v36
	v_dual_add_f32 v63, v63, v24 :: v_dual_mul_f32 v94, 0x3f68dda4, v94
	s_delay_alu instid0(VALU_DEP_3) | instskip(SKIP_4) | instid1(VALU_DEP_4)
	v_add_f32_e32 v98, v111, v112
	v_fma_f32 v112, 0xbf27a4f4, v31, -v115
	v_fmamk_f32 v115, v28, 0xbf27a4f4, v79
	v_mul_f32_e32 v111, 0x3ed4b147, v31
	v_add_f32_e32 v63, v69, v63
	v_dual_add_f32 v59, v59, v24 :: v_dual_add_f32 v98, v112, v98
	v_fma_f32 v112, 0x3ed4b147, v38, -v117
	v_add_f32_e32 v115, v115, v25
	v_mul_f32_e32 v117, 0xbf4178ce, v75
	v_fma_f32 v75, 0xbe11bafb, v58, -v119
	v_fma_f32 v119, 0xbf75a155, v38, -v89
	v_add_f32_e32 v112, v112, v98
	v_fmamk_f32 v116, v30, 0xbe11bafb, v86
	v_add_f32_e32 v98, v118, v97
	v_fma_f32 v118, 0xbf27a4f4, v27, -v117
	v_sub_f32_e32 v69, v111, v73
	v_add_f32_e32 v97, v75, v112
	v_dual_add_f32 v115, v116, v115 :: v_dual_fmamk_f32 v116, v35, 0x3f575c64, v92
	v_mul_f32_e32 v120, 0xbf75a155, v30
	v_mul_f32_e32 v112, 0xbf27a4f4, v38
	v_dual_add_f32 v88, v88, v113 :: v_dual_add_f32 v63, v69, v63
	s_delay_alu instid0(VALU_DEP_4)
	v_add_f32_e32 v75, v116, v115
	v_add_f32_e32 v115, v118, v24
	v_fma_f32 v116, 0xbe11bafb, v29, -v80
	v_add_f32_e32 v81, v81, v120
	v_dual_add_f32 v95, v114, v110 :: v_dual_mul_f32 v110, 0xbe11bafb, v35
	v_mul_f32_e32 v118, 0xbf27a4f4, v55
	s_delay_alu instid0(VALU_DEP_4)
	v_add_f32_e32 v115, v116, v115
	v_fma_f32 v116, 0x3f575c64, v31, -v87
	v_add_f32_e32 v81, v81, v76
	v_fmamk_f32 v76, v61, 0x3ed4b147, v94
	v_mul_f32_e32 v113, 0x3f575c64, v58
	v_mul_f32_e32 v114, 0xbf75a155, v31
	v_add_f32_e32 v115, v116, v115
	v_dual_add_f32 v81, v84, v81 :: v_dual_fmamk_f32 v116, v55, 0xbf75a155, v90
	v_mul_f32_e32 v122, 0xbf75a155, v35
	v_dual_add_f32 v62, v62, v25 :: v_dual_add_f32 v59, v65, v59
	s_delay_alu instid0(VALU_DEP_4) | instskip(NEXT) | instid1(VALU_DEP_4)
	v_add_f32_e32 v115, v119, v115
	v_add_f32_e32 v75, v116, v75
	v_fma_f32 v116, 0x3ed4b147, v58, -v93
	v_add_f32_e32 v81, v88, v81
	v_mul_f32_e32 v119, 0xbe11bafb, v55
	v_mul_f32_e32 v84, 0xbf75a155, v61
	v_add_f32_e32 v76, v76, v75
	v_add_f32_e32 v75, v116, v115
	v_mul_f32_e32 v115, 0x3f575c64, v38
	v_mul_f32_e32 v116, 0xbf75a155, v58
	;; [unrolled: 1-line block ×4, first 2 shown]
	v_sub_f32_e32 v65, v114, v70
	v_sub_f32_e32 v69, v115, v82
	v_add_f32_e32 v62, v67, v62
	v_dual_add_f32 v88, v91, v88 :: v_dual_add_f32 v67, v72, v122
	v_add_f32_e32 v72, v83, v103
	s_delay_alu instid0(VALU_DEP_4)
	v_add_f32_e32 v69, v69, v63
	v_add_f32_e32 v59, v65, v59
	v_sub_f32_e32 v65, v104, v74
	v_dual_add_f32 v62, v67, v62 :: v_dual_add_f32 v67, v78, v119
	v_dual_sub_f32 v70, v102, v85 :: v_dual_add_f32 v73, v37, v100
	v_add_f32_e32 v63, v88, v81
	s_delay_alu instid0(VALU_DEP_4) | instskip(NEXT) | instid1(VALU_DEP_3)
	v_dual_add_f32 v59, v65, v59 :: v_dual_add_f32 v56, v56, v106
	v_dual_add_f32 v67, v67, v62 :: v_dual_add_f32 v62, v70, v69
	s_delay_alu instid0(VALU_DEP_4) | instskip(NEXT) | instid1(VALU_DEP_2)
	v_dual_add_f32 v65, v73, v25 :: v_dual_add_f32 v36, v36, v24
	v_dual_sub_f32 v54, v105, v54 :: v_dual_add_f32 v37, v72, v67
	v_add_f32_e32 v21, v23, v21
	s_delay_alu instid0(VALU_DEP_3) | instskip(SKIP_1) | instid1(VALU_DEP_3)
	v_dual_add_f32 v23, v56, v65 :: v_dual_add_f32 v20, v22, v20
	v_dual_sub_f32 v67, v113, v77 :: v_dual_add_f32 v56, v60, v110
	v_dual_add_f32 v36, v54, v36 :: v_dual_add_f32 v17, v17, v21
	s_delay_alu instid0(VALU_DEP_3) | instskip(NEXT) | instid1(VALU_DEP_3)
	v_dual_sub_f32 v21, v121, v57 :: v_dual_add_f32 v16, v16, v20
	v_dual_add_f32 v22, v56, v23 :: v_dual_add_f32 v23, v66, v118
	s_delay_alu instid0(VALU_DEP_3) | instskip(NEXT) | instid1(VALU_DEP_3)
	v_dual_sub_f32 v20, v112, v64 :: v_dual_add_f32 v17, v19, v17
	v_add_f32_e32 v16, v18, v16
	s_delay_alu instid0(VALU_DEP_4) | instskip(NEXT) | instid1(VALU_DEP_4)
	v_dual_add_f32 v19, v21, v36 :: v_dual_fmac_f32 v80, 0xbe11bafb, v29
	v_add_f32_e32 v21, v23, v22
	s_delay_alu instid0(VALU_DEP_3) | instskip(NEXT) | instid1(VALU_DEP_3)
	v_dual_add_f32 v13, v13, v17 :: v_dual_add_f32 v16, v12, v16
	v_add_f32_e32 v18, v20, v19
	v_add_f32_e32 v36, v67, v59
	v_fmac_f32_e32 v87, 0x3f575c64, v31
	s_delay_alu instid0(VALU_DEP_4)
	v_dual_add_f32 v15, v15, v13 :: v_dual_add_f32 v14, v14, v16
	v_add_f32_e32 v17, v71, v84
	v_fma_f32 v16, 0xbe11bafb, v30, -v86
	v_fmac_f32_e32 v89, 0xbf75a155, v38
	v_fmac_f32_e32 v93, 0x3ed4b147, v58
	v_dual_add_f32 v8, v8, v14 :: v_dual_add_f32 v9, v9, v15
	v_add_f32_e32 v13, v17, v21
	v_fma_f32 v17, 0xbf27a4f4, v28, -v79
	s_delay_alu instid0(VALU_DEP_3) | instskip(NEXT) | instid1(VALU_DEP_1)
	v_dual_add_f32 v8, v10, v8 :: v_dual_fmac_f32 v117, 0xbf27a4f4, v27
	v_dual_add_f32 v9, v11, v9 :: v_dual_add_f32 v4, v4, v8
	s_delay_alu instid0(VALU_DEP_2) | instskip(NEXT) | instid1(VALU_DEP_2)
	v_add_f32_e32 v11, v117, v24
	v_dual_add_f32 v5, v5, v9 :: v_dual_add_f32 v4, v6, v4
	s_delay_alu instid0(VALU_DEP_2) | instskip(SKIP_2) | instid1(VALU_DEP_4)
	v_add_f32_e32 v9, v80, v11
	v_fma_f32 v11, 0xbf75a155, v55, -v90
	v_add_f32_e32 v15, v17, v25
	v_add_f32_e32 v5, v7, v5
	s_delay_alu instid0(VALU_DEP_4) | instskip(NEXT) | instid1(VALU_DEP_3)
	v_add_f32_e32 v7, v87, v9
	v_dual_add_f32 v14, v16, v15 :: v_dual_and_b32 v9, 0xffff, v53
	v_fma_f32 v15, 0x3f575c64, v35, -v92
	v_sub_f32_e32 v19, v116, v68
	s_delay_alu instid0(VALU_DEP_3) | instskip(NEXT) | instid1(VALU_DEP_3)
	v_add_lshl_u32 v9, v26, v9, 3
	v_add_f32_e32 v10, v15, v14
	s_delay_alu instid0(VALU_DEP_3) | instskip(NEXT) | instid1(VALU_DEP_2)
	v_add_f32_e32 v12, v19, v18
	v_add_f32_e32 v8, v11, v10
	v_fma_f32 v10, 0x3ed4b147, v61, -v94
	v_add_f32_e32 v11, v89, v7
	s_delay_alu instid0(VALU_DEP_1)
	v_dual_add_f32 v7, v10, v8 :: v_dual_add_f32 v6, v93, v11
	ds_store_2addr_b64 v9, v[4:5], v[12:13] offset1:1
	ds_store_2addr_b64 v9, v[36:37], v[62:63] offset0:2 offset1:3
	ds_store_2addr_b64 v9, v[75:76], v[97:98] offset0:4 offset1:5
	;; [unrolled: 1-line block ×4, first 2 shown]
	ds_store_b64 v9, v[2:3] offset:80
.LBB0_7:
	s_wait_alu 0xfffe
	s_or_b32 exec_lo, exec_lo, s4
	v_mad_co_u64_u32 v[16:17], null, v39, 56, s[0:1]
	s_load_b128 s[0:3], s[2:3], 0x0
	global_wb scope:SCOPE_SE
	s_wait_dscnt 0x0
	s_wait_kmcnt 0x0
	s_barrier_signal -1
	s_barrier_wait -1
	global_inv scope:SCOPE_SE
	v_add_lshl_u32 v55, v26, v39, 3
	s_clause 0x3
	global_load_b128 v[12:15], v[16:17], off
	global_load_b128 v[8:11], v[16:17], off offset:16
	global_load_b128 v[4:7], v[16:17], off offset:32
	global_load_b64 v[35:36], v[16:17], off offset:48
	ds_load_2addr_b64 v[16:19], v55 offset1:11
	ds_load_2addr_b64 v[20:23], v55 offset0:22 offset1:33
	ds_load_2addr_b64 v[24:27], v55 offset0:44 offset1:55
	;; [unrolled: 1-line block ×3, first 2 shown]
	v_lshl_add_u32 v54, v39, 3, v52
	s_wait_loadcnt_dscnt 0x302
	v_dual_mul_f32 v37, v19, v13 :: v_dual_mul_f32 v56, v21, v15
	v_dual_mul_f32 v38, v18, v13 :: v_dual_mul_f32 v57, v20, v15
	s_wait_loadcnt_dscnt 0x201
	v_dual_mul_f32 v58, v23, v9 :: v_dual_mul_f32 v61, v24, v11
	v_dual_mul_f32 v59, v22, v9 :: v_dual_mul_f32 v60, v25, v11
	s_wait_loadcnt_dscnt 0x0
	v_dual_mul_f32 v66, v31, v36 :: v_dual_fmac_f32 v57, v21, v14
	v_dual_mul_f32 v62, v27, v5 :: v_dual_mul_f32 v65, v28, v7
	v_dual_fmac_f32 v38, v19, v12 :: v_dual_fmac_f32 v61, v25, v10
	v_fma_f32 v19, v20, v14, -v56
	v_fma_f32 v20, v22, v8, -v58
	;; [unrolled: 1-line block ×4, first 2 shown]
	v_dual_mul_f32 v63, v26, v5 :: v_dual_mul_f32 v64, v29, v7
	v_fma_f32 v18, v18, v12, -v37
	v_fma_f32 v22, v26, v4, -v62
	s_delay_alu instid0(VALU_DEP_4) | instskip(SKIP_1) | instid1(VALU_DEP_3)
	v_dual_fmac_f32 v65, v29, v6 :: v_dual_sub_f32 v24, v20, v24
	v_mul_f32_e32 v67, v30, v36
	v_dual_fmac_f32 v59, v23, v8 :: v_dual_sub_f32 v22, v18, v22
	v_fma_f32 v23, v28, v6, -v64
	s_delay_alu instid0(VALU_DEP_3)
	v_dual_sub_f32 v26, v57, v65 :: v_dual_fmac_f32 v67, v31, v35
	v_sub_f32_e32 v21, v16, v21
	v_sub_f32_e32 v25, v17, v61
	v_fma_f32 v20, v20, 2.0, -v24
	v_fma_f32 v18, v18, 2.0, -v22
	v_sub_f32_e32 v28, v59, v67
	v_fma_f32 v29, v16, 2.0, -v21
	v_sub_f32_e32 v23, v19, v23
	v_fmac_f32_e32 v63, v27, v4
	s_delay_alu instid0(VALU_DEP_4) | instskip(NEXT) | instid1(VALU_DEP_3)
	v_fma_f32 v31, v59, 2.0, -v28
	v_fma_f32 v16, v19, 2.0, -v23
	s_delay_alu instid0(VALU_DEP_3) | instskip(NEXT) | instid1(VALU_DEP_1)
	v_sub_f32_e32 v27, v38, v63
	v_fma_f32 v19, v38, 2.0, -v27
	v_add_f32_e32 v24, v27, v24
	v_fma_f32 v30, v17, 2.0, -v25
	v_fma_f32 v17, v57, 2.0, -v26
	v_dual_sub_f32 v37, v21, v26 :: v_dual_sub_f32 v26, v22, v28
	v_sub_f32_e32 v28, v29, v16
	v_add_f32_e32 v38, v25, v23
	s_delay_alu instid0(VALU_DEP_4) | instskip(NEXT) | instid1(VALU_DEP_4)
	v_sub_f32_e32 v56, v30, v17
	v_fma_f32 v57, v21, 2.0, -v37
	v_fmamk_f32 v16, v26, 0x3f3504f3, v37
	v_fma_f32 v29, v29, 2.0, -v28
	v_fma_f32 v58, v25, 2.0, -v38
	v_sub_f32_e32 v25, v19, v31
	v_fma_f32 v31, v22, 2.0, -v26
	v_sub_f32_e32 v23, v18, v20
	v_fma_f32 v60, v30, 2.0, -v56
	v_fmac_f32_e32 v16, 0xbf3504f3, v24
	v_sub_f32_e32 v22, v28, v25
	v_fmamk_f32 v20, v31, 0xbf3504f3, v57
	v_fma_f32 v59, v27, 2.0, -v24
	v_fma_f32 v18, v18, 2.0, -v23
	v_fmamk_f32 v17, v24, 0x3f3504f3, v38
	v_fma_f32 v19, v19, 2.0, -v25
	v_add_f32_e32 v23, v56, v23
	v_fmamk_f32 v21, v59, 0xbf3504f3, v58
	v_fmac_f32_e32 v20, 0xbf3504f3, v59
	v_fmac_f32_e32 v17, 0x3f3504f3, v26
	v_dual_sub_f32 v26, v29, v18 :: v_dual_sub_f32 v27, v60, v19
	s_delay_alu instid0(VALU_DEP_4)
	v_fmac_f32_e32 v21, 0x3f3504f3, v31
	v_fma_f32 v30, v28, 2.0, -v22
	v_fma_f32 v31, v56, 2.0, -v23
	;; [unrolled: 1-line block ×8, first 2 shown]
	ds_store_2addr_b64 v54, v[22:23], v[16:17] offset0:66 offset1:77
	ds_store_2addr_b64 v54, v[30:31], v[24:25] offset0:22 offset1:33
	;; [unrolled: 1-line block ×3, first 2 shown]
	ds_store_2addr_b64 v54, v[37:38], v[28:29] offset1:11
	global_wb scope:SCOPE_SE
	s_wait_dscnt 0x0
	s_barrier_signal -1
	s_barrier_wait -1
	global_inv scope:SCOPE_SE
	s_and_saveexec_b32 s4, vcc_lo
	s_cbranch_execz .LBB0_9
; %bb.8:
	global_load_b64 v[18:19], v50, s[12:13] offset:704
	s_add_nc_u64 s[6:7], s[12:13], 0x2c0
	s_clause 0x9
	global_load_b64 v[76:77], v50, s[6:7] offset:64
	global_load_b64 v[78:79], v50, s[6:7] offset:128
	;; [unrolled: 1-line block ×10, first 2 shown]
	ds_load_b64 v[56:57], v51
	s_wait_loadcnt_dscnt 0xa00
	v_mul_f32_e32 v58, v57, v19
	v_mul_f32_e32 v59, v56, v19
	s_delay_alu instid0(VALU_DEP_2) | instskip(NEXT) | instid1(VALU_DEP_2)
	v_fma_f32 v58, v56, v18, -v58
	v_fmac_f32_e32 v59, v57, v18
	ds_store_b64 v51, v[58:59]
	ds_load_2addr_b64 v[56:59], v54 offset0:8 offset1:16
	ds_load_2addr_b64 v[60:63], v54 offset0:24 offset1:32
	;; [unrolled: 1-line block ×5, first 2 shown]
	s_wait_loadcnt_dscnt 0x904
	v_mul_f32_e32 v18, v57, v77
	s_wait_loadcnt_dscnt 0x603
	v_dual_mul_f32 v98, v63, v83 :: v_dual_mul_f32 v19, v56, v77
	v_dual_mul_f32 v96, v59, v79 :: v_dual_mul_f32 v97, v61, v81
	v_mul_f32_e32 v77, v58, v79
	s_wait_loadcnt_dscnt 0x402
	v_dual_mul_f32 v79, v60, v81 :: v_dual_mul_f32 v100, v67, v87
	v_mul_f32_e32 v81, v62, v83
	s_wait_loadcnt_dscnt 0x201
	v_dual_mul_f32 v99, v65, v85 :: v_dual_mul_f32 v102, v71, v91
	s_wait_loadcnt_dscnt 0x0
	v_dual_mul_f32 v83, v64, v85 :: v_dual_mul_f32 v104, v75, v95
	v_mul_f32_e32 v85, v66, v87
	v_mul_f32_e32 v101, v69, v89
	;; [unrolled: 1-line block ×7, first 2 shown]
	v_fma_f32 v18, v56, v76, -v18
	v_fmac_f32_e32 v19, v57, v76
	v_fma_f32 v76, v58, v78, -v96
	v_fmac_f32_e32 v77, v59, v78
	;; [unrolled: 2-line block ×10, first 2 shown]
	ds_store_2addr_b64 v54, v[18:19], v[76:77] offset0:8 offset1:16
	ds_store_2addr_b64 v54, v[78:79], v[80:81] offset0:24 offset1:32
	;; [unrolled: 1-line block ×5, first 2 shown]
.LBB0_9:
	s_wait_alu 0xfffe
	s_or_b32 exec_lo, exec_lo, s4
	global_wb scope:SCOPE_SE
	s_wait_dscnt 0x0
	s_barrier_signal -1
	s_barrier_wait -1
	global_inv scope:SCOPE_SE
	s_and_saveexec_b32 s4, vcc_lo
	s_cbranch_execz .LBB0_11
; %bb.10:
	ds_load_2addr_b64 v[16:19], v54 offset0:56 offset1:64
	ds_load_2addr_b64 v[0:3], v54 offset0:72 offset1:80
	ds_load_b64 v[37:38], v51
	ds_load_2addr_b64 v[28:31], v54 offset0:8 offset1:16
	ds_load_2addr_b64 v[24:27], v54 offset0:24 offset1:32
	;; [unrolled: 1-line block ×3, first 2 shown]
	s_wait_dscnt 0x5
	v_dual_mov_b32 v33, v18 :: v_dual_mov_b32 v34, v19
.LBB0_11:
	s_wait_alu 0xfffe
	s_or_b32 exec_lo, exec_lo, s4
	global_wb scope:SCOPE_SE
	s_wait_dscnt 0x0
	s_barrier_signal -1
	s_barrier_wait -1
	global_inv scope:SCOPE_SE
	s_and_saveexec_b32 s4, vcc_lo
	s_cbranch_execz .LBB0_13
; %bb.12:
	v_dual_sub_f32 v64, v28, v2 :: v_dual_sub_f32 v65, v30, v0
	v_dual_add_f32 v62, v3, v29 :: v_dual_sub_f32 v69, v26, v16
	v_dual_add_f32 v66, v1, v31 :: v_dual_sub_f32 v67, v24, v33
	s_delay_alu instid0(VALU_DEP_3) | instskip(NEXT) | instid1(VALU_DEP_4)
	v_dual_mul_f32 v18, 0xbe903f40, v64 :: v_dual_sub_f32 v71, v20, v22
	v_dual_add_f32 v70, v17, v27 :: v_dual_mul_f32 v19, 0x3f0a6770, v65
	s_delay_alu instid0(VALU_DEP_3) | instskip(NEXT) | instid1(VALU_DEP_3)
	v_dual_add_f32 v68, v34, v25 :: v_dual_mul_f32 v57, 0xbf4178ce, v67
	v_dual_fmamk_f32 v56, v62, 0xbf75a155, v18 :: v_dual_sub_f32 v73, v29, v3
	s_delay_alu instid0(VALU_DEP_3) | instskip(NEXT) | instid1(VALU_DEP_2)
	v_dual_fmamk_f32 v58, v66, 0x3f575c64, v19 :: v_dual_sub_f32 v75, v31, v1
	v_dual_mul_f32 v59, 0x3f68dda4, v69 :: v_dual_add_f32 v56, v38, v56
	v_add_f32_e32 v72, v23, v21
	v_dual_fmamk_f32 v60, v68, 0xbf27a4f4, v57 :: v_dual_sub_f32 v77, v25, v34
	s_delay_alu instid0(VALU_DEP_3)
	v_fmamk_f32 v61, v70, 0x3ed4b147, v59
	v_dual_mul_f32 v78, 0xbf7d64f0, v71 :: v_dual_add_f32 v83, v16, v26
	v_add_f32_e32 v56, v58, v56
	v_dual_add_f32 v74, v2, v28 :: v_dual_mul_f32 v63, 0x3f0a6770, v75
	v_dual_mul_f32 v58, 0xbe903f40, v73 :: v_dual_add_f32 v79, v33, v24
	v_dual_add_f32 v76, v0, v30 :: v_dual_sub_f32 v85, v21, v23
	v_fmamk_f32 v81, v72, 0xbe11bafb, v78
	v_add_f32_e32 v56, v60, v56
	v_fma_f32 v18, 0xbf75a155, v62, -v18
	v_fma_f32 v60, 0xbf75a155, v74, -v58
	v_mul_f32_e32 v87, 0xbf7d64f0, v85
	v_fma_f32 v19, 0x3f575c64, v66, -v19
	v_add_f32_e32 v56, v61, v56
	v_add_f32_e32 v18, v38, v18
	v_fma_f32 v61, 0x3f575c64, v76, -v63
	v_fmac_f32_e32 v63, 0x3f575c64, v76
	v_mul_f32_e32 v80, 0xbf4178ce, v77
	v_fma_f32 v57, 0xbf27a4f4, v68, -v57
	v_dual_add_f32 v18, v19, v18 :: v_dual_mul_f32 v89, 0x3ed4b147, v72
	v_dual_sub_f32 v82, v27, v17 :: v_dual_add_f32 v19, v81, v56
	v_mul_f32_e32 v81, 0xbf27a4f4, v62
	s_delay_alu instid0(VALU_DEP_3) | instskip(SKIP_1) | instid1(VALU_DEP_4)
	v_add_f32_e32 v57, v57, v18
	v_add_f32_e32 v60, v37, v60
	v_mul_f32_e32 v84, 0x3f68dda4, v82
	v_mul_f32_e32 v88, 0xbe11bafb, v66
	v_add_f32_e32 v86, v22, v20
	v_fma_f32 v59, 0x3ed4b147, v70, -v59
	v_add_f32_e32 v60, v61, v60
	v_fma_f32 v61, 0xbf27a4f4, v79, -v80
	v_mul_f32_e32 v99, 0x3e903f40, v75
	v_mul_f32_e32 v91, 0xbf0a6770, v77
	v_fmac_f32_e32 v80, 0xbf27a4f4, v79
	v_mul_f32_e32 v92, 0xbf75a155, v66
	v_add_f32_e32 v60, v61, v60
	v_fma_f32 v61, 0x3ed4b147, v83, -v84
	v_fmamk_f32 v102, v76, 0xbf75a155, v99
	v_dual_mul_f32 v106, 0xbf75a155, v68 :: v_dual_add_f32 v29, v29, v38
	s_delay_alu instid0(VALU_DEP_3) | instskip(SKIP_2) | instid1(VALU_DEP_4)
	v_dual_mul_f32 v93, 0xbe903f40, v82 :: v_dual_add_f32 v56, v61, v60
	v_fmamk_f32 v61, v65, 0xbf7d64f0, v88
	v_fma_f32 v60, 0xbe11bafb, v86, -v87
	v_dual_mul_f32 v108, 0xbe11bafb, v70 :: v_dual_add_f32 v29, v31, v29
	v_mul_f32_e32 v90, 0xbe11bafb, v62
	s_delay_alu instid0(VALU_DEP_3)
	v_dual_fmac_f32 v87, 0xbe11bafb, v86 :: v_dual_add_f32 v18, v60, v56
	v_dual_add_f32 v56, v59, v57 :: v_dual_fmamk_f32 v57, v64, 0x3f4178ce, v81
	v_fma_f32 v59, 0xbe11bafb, v72, -v78
	v_mul_f32_e32 v78, 0x3f575c64, v68
	v_fmamk_f32 v110, v69, 0xbf7d64f0, v108
	v_mul_f32_e32 v94, 0x3ed4b147, v68
	s_delay_alu instid0(VALU_DEP_4) | instskip(NEXT) | instid1(VALU_DEP_4)
	v_dual_add_f32 v60, v38, v57 :: v_dual_add_f32 v57, v59, v56
	v_fmamk_f32 v59, v67, 0x3f0a6770, v78
	v_dual_mul_f32 v96, 0x3f575c64, v70 :: v_dual_mul_f32 v111, 0x3f575c64, v72
	s_delay_alu instid0(VALU_DEP_3) | instskip(SKIP_4) | instid1(VALU_DEP_4)
	v_add_f32_e32 v56, v61, v60
	v_fmac_f32_e32 v58, 0xbf75a155, v74
	v_mul_f32_e32 v98, 0xbf27a4f4, v72
	v_mul_f32_e32 v104, 0xbf27a4f4, v66
	v_dual_mul_f32 v66, 0x3ed4b147, v66 :: v_dual_add_f32 v25, v25, v29
	v_dual_add_f32 v59, v59, v56 :: v_dual_add_f32 v58, v37, v58
	v_mul_f32_e32 v109, 0xbf68dda4, v73
	v_mul_f32_e32 v100, 0x3ed4b147, v62
	s_delay_alu instid0(VALU_DEP_4) | instskip(SKIP_3) | instid1(VALU_DEP_2)
	v_fmamk_f32 v115, v65, 0x3f68dda4, v66
	v_mul_f32_e32 v112, 0x3f575c64, v62
	v_dual_add_f32 v58, v63, v58 :: v_dual_fmamk_f32 v63, v65, 0xbe903f40, v92
	v_dual_mul_f32 v68, 0xbe11bafb, v68 :: v_dual_add_f32 v25, v27, v25
	v_dual_mul_f32 v95, 0x3f68dda4, v85 :: v_dual_add_f32 v58, v80, v58
	v_mul_f32_e32 v80, 0xbf75a155, v70
	v_fmac_f32_e32 v84, 0x3ed4b147, v83
	s_delay_alu instid0(VALU_DEP_4) | instskip(SKIP_1) | instid1(VALU_DEP_4)
	v_dual_mul_f32 v70, 0xbf27a4f4, v70 :: v_dual_add_f32 v25, v21, v25
	v_dual_add_f32 v28, v28, v37 :: v_dual_mul_f32 v29, 0xbf75a155, v72
	v_fmamk_f32 v60, v69, 0x3e903f40, v80
	s_delay_alu instid0(VALU_DEP_4)
	v_add_f32_e32 v58, v84, v58
	v_mul_f32_e32 v84, 0xbf4178ce, v73
	v_fmamk_f32 v105, v65, 0x3f4178ce, v104
	v_mul_f32_e32 v97, 0xbf7d64f0, v73
	v_dual_add_f32 v59, v60, v59 :: v_dual_fmamk_f32 v60, v71, 0xbf68dda4, v89
	v_dual_add_f32 v28, v30, v28 :: v_dual_add_f32 v23, v23, v25
	v_fmac_f32_e32 v89, 0x3f68dda4, v71
	s_delay_alu instid0(VALU_DEP_3) | instskip(SKIP_1) | instid1(VALU_DEP_4)
	v_dual_fmac_f32 v108, 0x3f7d64f0, v69 :: v_dual_add_f32 v59, v60, v59
	v_fmamk_f32 v60, v64, 0x3f7d64f0, v90
	v_dual_mul_f32 v103, 0x3f68dda4, v77 :: v_dual_add_f32 v24, v24, v28
	v_fmac_f32_e32 v66, 0xbf68dda4, v65
	s_delay_alu instid0(VALU_DEP_3) | instskip(NEXT) | instid1(VALU_DEP_3)
	v_dual_mul_f32 v107, 0xbf4178ce, v85 :: v_dual_add_f32 v60, v38, v60
	v_dual_mul_f32 v73, 0xbf0a6770, v73 :: v_dual_add_f32 v24, v26, v24
	v_add_f32_e32 v17, v17, v23
	s_delay_alu instid0(VALU_DEP_3) | instskip(SKIP_4) | instid1(VALU_DEP_4)
	v_dual_mul_f32 v27, 0xbf7d64f0, v77 :: v_dual_add_f32 v60, v63, v60
	v_fmamk_f32 v63, v67, 0xbf68dda4, v94
	v_add_f32_e32 v56, v87, v58
	v_fmamk_f32 v58, v74, 0xbf27a4f4, v84
	v_mul_f32_e32 v87, 0x3f7d64f0, v75
	v_dual_add_f32 v17, v34, v17 :: v_dual_add_f32 v60, v63, v60
	v_fmamk_f32 v63, v69, 0x3f0a6770, v96
	s_delay_alu instid0(VALU_DEP_3) | instskip(NEXT) | instid1(VALU_DEP_3)
	v_dual_add_f32 v58, v37, v58 :: v_dual_fmamk_f32 v61, v76, 0xbe11bafb, v87
	v_dual_add_f32 v20, v20, v24 :: v_dual_add_f32 v1, v1, v17
	s_delay_alu instid0(VALU_DEP_3) | instskip(NEXT) | instid1(VALU_DEP_3)
	v_add_f32_e32 v60, v63, v60
	v_dual_fmamk_f32 v63, v71, 0x3f4178ce, v98 :: v_dual_add_f32 v58, v61, v58
	s_delay_alu instid0(VALU_DEP_3) | instskip(SKIP_3) | instid1(VALU_DEP_4)
	v_dual_fmamk_f32 v61, v79, 0x3f575c64, v91 :: v_dual_add_f32 v20, v22, v20
	v_fmac_f32_e32 v81, 0xbf4178ce, v64
	v_fmac_f32_e32 v96, 0xbf0a6770, v69
	v_fmamk_f32 v26, v79, 0xbe11bafb, v27
	v_dual_add_f32 v58, v61, v58 :: v_dual_fmamk_f32 v61, v83, 0xbf75a155, v93
	v_fma_f32 v27, 0xbe11bafb, v79, -v27
	s_delay_alu instid0(VALU_DEP_2) | instskip(SKIP_1) | instid1(VALU_DEP_1)
	v_dual_add_f32 v1, v3, v1 :: v_dual_add_f32 v58, v61, v58
	v_fmamk_f32 v61, v86, 0x3ed4b147, v95
	v_dual_add_f32 v58, v61, v58 :: v_dual_fmamk_f32 v61, v74, 0xbe11bafb, v97
	s_delay_alu instid0(VALU_DEP_1) | instskip(SKIP_2) | instid1(VALU_DEP_3)
	v_dual_fmac_f32 v90, 0xbf7d64f0, v64 :: v_dual_add_f32 v101, v37, v61
	v_dual_add_f32 v61, v63, v60 :: v_dual_fmamk_f32 v60, v64, 0x3f68dda4, v100
	v_fmac_f32_e32 v80, 0xbe903f40, v69
	v_add_f32_e32 v63, v102, v101
	v_fmamk_f32 v101, v79, 0x3ed4b147, v103
	v_mul_f32_e32 v102, 0xbf0a6770, v82
	v_add_f32_e32 v60, v38, v60
	v_fmac_f32_e32 v94, 0x3f68dda4, v67
	s_delay_alu instid0(VALU_DEP_4) | instskip(NEXT) | instid1(VALU_DEP_3)
	v_add_f32_e32 v63, v101, v63
	v_dual_fmamk_f32 v101, v83, 0x3f575c64, v102 :: v_dual_add_f32 v60, v105, v60
	v_fmamk_f32 v105, v67, 0xbe903f40, v106
	v_fmac_f32_e32 v106, 0x3e903f40, v67
	s_delay_alu instid0(VALU_DEP_3) | instskip(SKIP_1) | instid1(VALU_DEP_4)
	v_add_f32_e32 v63, v101, v63
	v_fmamk_f32 v101, v86, 0xbf27a4f4, v107
	v_dual_add_f32 v105, v105, v60 :: v_dual_fmac_f32 v98, 0xbf4178ce, v71
	v_fmac_f32_e32 v88, 0x3f7d64f0, v65
	v_fmac_f32_e32 v92, 0x3e903f40, v65
	s_delay_alu instid0(VALU_DEP_4) | instskip(NEXT) | instid1(VALU_DEP_4)
	v_dual_add_f32 v60, v101, v63 :: v_dual_fmamk_f32 v63, v74, 0x3ed4b147, v109
	v_dual_add_f32 v105, v110, v105 :: v_dual_fmamk_f32 v110, v71, 0xbf0a6770, v111
	v_mul_f32_e32 v101, 0xbf4178ce, v75
	v_mul_f32_e32 v75, 0xbf68dda4, v75
	s_delay_alu instid0(VALU_DEP_4) | instskip(NEXT) | instid1(VALU_DEP_4)
	v_add_f32_e32 v62, v37, v63
	v_dual_fmac_f32 v100, 0xbf68dda4, v64 :: v_dual_add_f32 v63, v110, v105
	v_fmamk_f32 v105, v64, 0x3f0a6770, v112
	v_fmamk_f32 v113, v76, 0xbf27a4f4, v101
	;; [unrolled: 1-line block ×3, first 2 shown]
	v_fmac_f32_e32 v104, 0xbf4178ce, v65
	v_fmac_f32_e32 v111, 0x3f0a6770, v71
	v_add_f32_e32 v105, v38, v105
	s_delay_alu instid0(VALU_DEP_1) | instskip(SKIP_4) | instid1(VALU_DEP_4)
	v_add_f32_e32 v105, v115, v105
	v_fmamk_f32 v115, v67, 0x3f7d64f0, v68
	v_fmac_f32_e32 v68, 0xbf7d64f0, v67
	v_fmac_f32_e32 v78, 0xbf0a6770, v67
	v_fmamk_f32 v28, v71, 0x3e903f40, v29
	v_dual_add_f32 v62, v113, v62 :: v_dual_add_f32 v105, v115, v105
	v_fmamk_f32 v115, v69, 0x3f4178ce, v70
	v_mul_f32_e32 v113, 0x3f7d64f0, v82
	v_fmac_f32_e32 v70, 0xbf4178ce, v69
	v_fmac_f32_e32 v29, 0xbe903f40, v71
	s_delay_alu instid0(VALU_DEP_4) | instskip(SKIP_2) | instid1(VALU_DEP_3)
	v_add_f32_e32 v31, v115, v105
	v_mul_f32_e32 v114, 0x3e903f40, v77
	v_fmamk_f32 v105, v74, 0x3f575c64, v73
	v_dual_fmac_f32 v112, 0xbf0a6770, v64 :: v_dual_add_f32 v21, v28, v31
	s_delay_alu instid0(VALU_DEP_3) | instskip(NEXT) | instid1(VALU_DEP_3)
	v_fmamk_f32 v110, v79, 0xbf75a155, v114
	v_add_f32_e32 v30, v37, v105
	v_fma_f32 v28, 0xbf27a4f4, v76, -v101
	s_delay_alu instid0(VALU_DEP_3) | instskip(SKIP_1) | instid1(VALU_DEP_4)
	v_add_f32_e32 v62, v110, v62
	v_fmamk_f32 v110, v83, 0xbe11bafb, v113
	v_add_f32_e32 v30, v72, v30
	v_mul_f32_e32 v72, 0xbf4178ce, v82
	s_delay_alu instid0(VALU_DEP_3) | instskip(NEXT) | instid1(VALU_DEP_2)
	v_add_f32_e32 v62, v110, v62
	v_dual_add_f32 v24, v26, v30 :: v_dual_fmamk_f32 v25, v83, 0xbf27a4f4, v72
	v_mul_f32_e32 v26, 0xbe903f40, v85
	v_fma_f32 v30, 0x3ed4b147, v76, -v75
	v_add_f32_e32 v16, v16, v20
	s_delay_alu instid0(VALU_DEP_3) | instskip(SKIP_2) | instid1(VALU_DEP_4)
	v_dual_add_f32 v22, v25, v24 :: v_dual_fmamk_f32 v23, v86, 0xbf75a155, v26
	v_add_f32_e32 v24, v38, v81
	v_mul_f32_e32 v116, 0x3f0a6770, v85
	v_add_f32_e32 v16, v33, v16
	s_delay_alu instid0(VALU_DEP_4) | instskip(SKIP_1) | instid1(VALU_DEP_4)
	v_add_f32_e32 v20, v23, v22
	v_fma_f32 v22, 0xbf27a4f4, v74, -v84
	v_dual_add_f32 v17, v88, v24 :: v_dual_fmamk_f32 v110, v86, 0x3f575c64, v116
	v_fma_f32 v23, 0xbe11bafb, v76, -v87
	v_add_f32_e32 v0, v0, v16
	s_delay_alu instid0(VALU_DEP_3) | instskip(SKIP_2) | instid1(VALU_DEP_4)
	v_dual_add_f32 v22, v37, v22 :: v_dual_add_f32 v3, v78, v17
	v_fma_f32 v17, 0x3f575c64, v79, -v91
	v_fma_f32 v24, 0xbf75a155, v76, -v99
	v_add_f32_e32 v0, v2, v0
	s_delay_alu instid0(VALU_DEP_4) | instskip(SKIP_3) | instid1(VALU_DEP_4)
	v_add_f32_e32 v16, v23, v22
	v_add_f32_e32 v2, v80, v3
	;; [unrolled: 1-line block ×5, first 2 shown]
	v_fma_f32 v17, 0xbf75a155, v83, -v93
	v_add_f32_e32 v3, v89, v2
	v_fma_f32 v2, 0xbe11bafb, v74, -v97
	v_add_f32_e32 v22, v92, v22
	s_delay_alu instid0(VALU_DEP_4) | instskip(SKIP_1) | instid1(VALU_DEP_4)
	v_add_f32_e32 v16, v17, v16
	v_fma_f32 v17, 0x3ed4b147, v86, -v95
	v_add_f32_e32 v23, v37, v2
	s_delay_alu instid0(VALU_DEP_2) | instskip(NEXT) | instid1(VALU_DEP_2)
	v_add_f32_e32 v2, v17, v16
	v_dual_add_f32 v16, v94, v22 :: v_dual_add_f32 v17, v24, v23
	v_fma_f32 v22, 0x3ed4b147, v79, -v103
	v_add_f32_e32 v23, v38, v100
	v_fma_f32 v24, 0x3f575c64, v83, -v102
	s_delay_alu instid0(VALU_DEP_4) | instskip(SKIP_1) | instid1(VALU_DEP_4)
	v_add_f32_e32 v16, v96, v16
	v_fma_f32 v26, 0xbf75a155, v86, -v26
	v_dual_add_f32 v22, v22, v17 :: v_dual_add_f32 v23, v104, v23
	s_delay_alu instid0(VALU_DEP_3) | instskip(SKIP_1) | instid1(VALU_DEP_3)
	v_add_f32_e32 v17, v98, v16
	v_fma_f32 v16, 0x3ed4b147, v74, -v109
	v_add_f32_e32 v22, v24, v22
	v_fma_f32 v24, 0xbf27a4f4, v86, -v107
	v_add_f32_e32 v23, v106, v23
	s_delay_alu instid0(VALU_DEP_2) | instskip(NEXT) | instid1(VALU_DEP_2)
	v_dual_add_f32 v25, v37, v16 :: v_dual_add_f32 v16, v24, v22
	v_add_f32_e32 v22, v108, v23
	v_fma_f32 v23, 0x3f575c64, v74, -v73
	s_delay_alu instid0(VALU_DEP_3) | instskip(SKIP_1) | instid1(VALU_DEP_3)
	v_add_f32_e32 v24, v28, v25
	v_fma_f32 v25, 0xbf75a155, v79, -v114
	v_dual_add_f32 v28, v38, v112 :: v_dual_add_f32 v23, v37, v23
	s_delay_alu instid0(VALU_DEP_2) | instskip(SKIP_1) | instid1(VALU_DEP_3)
	v_add_f32_e32 v24, v25, v24
	v_fma_f32 v25, 0xbe11bafb, v83, -v113
	v_add_f32_e32 v28, v66, v28
	s_delay_alu instid0(VALU_DEP_4) | instskip(NEXT) | instid1(VALU_DEP_3)
	v_dual_add_f32 v23, v30, v23 :: v_dual_and_b32 v30, 0xffff, v53
	v_add_f32_e32 v24, v25, v24
	s_delay_alu instid0(VALU_DEP_3) | instskip(NEXT) | instid1(VALU_DEP_3)
	v_add_f32_e32 v25, v68, v28
	v_add_f32_e32 v23, v27, v23
	v_fma_f32 v27, 0xbf27a4f4, v83, -v72
	v_fma_f32 v28, 0x3f575c64, v86, -v116
	v_lshl_add_u32 v30, v30, 3, v52
	v_add_f32_e32 v25, v70, v25
	s_delay_alu instid0(VALU_DEP_4) | instskip(NEXT) | instid1(VALU_DEP_4)
	v_add_f32_e32 v27, v27, v23
	v_dual_add_f32 v23, v111, v22 :: v_dual_add_f32 v22, v28, v24
	s_delay_alu instid0(VALU_DEP_2)
	v_dual_add_f32 v25, v29, v25 :: v_dual_add_f32 v24, v26, v27
	ds_store_2addr_b64 v30, v[0:1], v[20:21] offset1:1
	ds_store_2addr_b64 v30, v[62:63], v[60:61] offset0:2 offset1:3
	ds_store_2addr_b64 v30, v[58:59], v[56:57] offset0:4 offset1:5
	;; [unrolled: 1-line block ×4, first 2 shown]
	ds_store_b64 v30, v[24:25] offset:80
.LBB0_13:
	s_wait_alu 0xfffe
	s_or_b32 exec_lo, exec_lo, s4
	global_wb scope:SCOPE_SE
	s_wait_dscnt 0x0
	s_barrier_signal -1
	s_barrier_wait -1
	global_inv scope:SCOPE_SE
	ds_load_2addr_b64 v[0:3], v55 offset1:11
	ds_load_2addr_b64 v[16:19], v55 offset0:22 offset1:33
	ds_load_2addr_b64 v[20:23], v55 offset0:44 offset1:55
	;; [unrolled: 1-line block ×3, first 2 shown]
	s_wait_dscnt 0x2
	v_dual_mul_f32 v28, v13, v3 :: v_dual_mul_f32 v29, v15, v17
	v_mul_f32_e32 v13, v13, v2
	v_dual_mul_f32 v15, v15, v16 :: v_dual_mul_f32 v30, v9, v19
	v_mul_f32_e32 v9, v9, v18
	s_wait_dscnt 0x1
	v_dual_mul_f32 v31, v11, v21 :: v_dual_fmac_f32 v28, v12, v2
	s_delay_alu instid0(VALU_DEP_3) | instskip(NEXT) | instid1(VALU_DEP_3)
	v_dual_mul_f32 v11, v11, v20 :: v_dual_fmac_f32 v30, v8, v18
	v_fma_f32 v8, v8, v19, -v9
	s_delay_alu instid0(VALU_DEP_3) | instskip(NEXT) | instid1(VALU_DEP_3)
	v_fmac_f32_e32 v31, v10, v20
	v_fma_f32 v9, v10, v21, -v11
	s_wait_dscnt 0x0
	v_mul_f32_e32 v10, v7, v25
	v_fma_f32 v2, v12, v3, -v13
	v_mul_f32_e32 v33, v5, v23
	v_dual_mul_f32 v5, v5, v22 :: v_dual_sub_f32 v12, v0, v31
	v_mul_f32_e32 v11, v36, v26
	v_sub_f32_e32 v9, v1, v9
	s_delay_alu instid0(VALU_DEP_4) | instskip(NEXT) | instid1(VALU_DEP_4)
	v_fmac_f32_e32 v33, v4, v22
	v_fma_f32 v4, v4, v23, -v5
	v_mul_f32_e32 v5, v7, v24
	v_fmac_f32_e32 v10, v6, v24
	v_fma_f32 v3, v14, v17, -v15
	v_fma_f32 v0, v0, 2.0, -v12
	v_fma_f32 v1, v1, 2.0, -v9
	v_fma_f32 v5, v6, v25, -v5
	v_fma_f32 v6, v35, v27, -v11
	v_fmac_f32_e32 v29, v14, v16
	v_dual_sub_f32 v11, v28, v33 :: v_dual_sub_f32 v4, v2, v4
	s_delay_alu instid0(VALU_DEP_3) | instskip(NEXT) | instid1(VALU_DEP_3)
	v_sub_f32_e32 v6, v8, v6
	v_sub_f32_e32 v10, v29, v10
	s_delay_alu instid0(VALU_DEP_3) | instskip(NEXT) | instid1(VALU_DEP_4)
	v_fma_f32 v14, v28, 2.0, -v11
	v_fma_f32 v2, v2, 2.0, -v4
	s_delay_alu instid0(VALU_DEP_4) | instskip(NEXT) | instid1(VALU_DEP_4)
	v_add_f32_e32 v19, v11, v6
	v_fma_f32 v13, v29, 2.0, -v10
	s_delay_alu instid0(VALU_DEP_1) | instskip(SKIP_1) | instid1(VALU_DEP_2)
	v_dual_sub_f32 v18, v9, v10 :: v_dual_sub_f32 v13, v0, v13
	v_sub_f32_e32 v5, v3, v5
	v_fma_f32 v9, v9, 2.0, -v18
	s_delay_alu instid0(VALU_DEP_2)
	v_fma_f32 v3, v3, 2.0, -v5
	v_add_f32_e32 v16, v12, v5
	v_fma_f32 v5, v8, 2.0, -v6
	v_mul_f32_e32 v7, v36, v27
	v_fma_f32 v8, v0, 2.0, -v13
	v_sub_f32_e32 v15, v1, v3
	v_fma_f32 v10, v12, 2.0, -v16
	s_delay_alu instid0(VALU_DEP_4) | instskip(SKIP_1) | instid1(VALU_DEP_4)
	v_dual_sub_f32 v20, v2, v5 :: v_dual_fmac_f32 v7, v35, v26
	v_fma_f32 v6, v11, 2.0, -v19
	v_fma_f32 v17, v1, 2.0, -v15
	s_delay_alu instid0(VALU_DEP_3) | instskip(NEXT) | instid1(VALU_DEP_3)
	v_fma_f32 v1, v2, 2.0, -v20
	v_fmamk_f32 v2, v6, 0xbf3504f3, v10
	v_sub_f32_e32 v7, v30, v7
	s_delay_alu instid0(VALU_DEP_3) | instskip(NEXT) | instid1(VALU_DEP_2)
	v_sub_f32_e32 v1, v17, v1
	v_sub_f32_e32 v21, v4, v7
	s_delay_alu instid0(VALU_DEP_1) | instskip(NEXT) | instid1(VALU_DEP_1)
	v_fma_f32 v5, v4, 2.0, -v21
	v_fmac_f32_e32 v2, 0x3f3504f3, v5
	v_fma_f32 v3, v30, 2.0, -v7
	s_delay_alu instid0(VALU_DEP_1) | instskip(SKIP_2) | instid1(VALU_DEP_3)
	v_dual_fmamk_f32 v7, v21, 0x3f3504f3, v18 :: v_dual_sub_f32 v12, v14, v3
	v_fmamk_f32 v3, v5, 0xbf3504f3, v9
	v_fma_f32 v5, v17, 2.0, -v1
	v_fma_f32 v0, v14, 2.0, -v12
	s_delay_alu instid0(VALU_DEP_3) | instskip(SKIP_2) | instid1(VALU_DEP_4)
	v_fmac_f32_e32 v3, 0xbf3504f3, v6
	v_fmamk_f32 v6, v19, 0x3f3504f3, v16
	v_sub_f32_e32 v11, v15, v12
	v_sub_f32_e32 v0, v8, v0
	s_delay_alu instid0(VALU_DEP_4) | instskip(NEXT) | instid1(VALU_DEP_4)
	v_fma_f32 v9, v9, 2.0, -v3
	v_fmac_f32_e32 v6, 0x3f3504f3, v21
	v_fmac_f32_e32 v7, 0xbf3504f3, v19
	s_delay_alu instid0(VALU_DEP_4) | instskip(SKIP_3) | instid1(VALU_DEP_2)
	v_fma_f32 v4, v8, 2.0, -v0
	v_fma_f32 v8, v10, 2.0, -v2
	v_add_f32_e32 v10, v13, v20
	v_fma_f32 v14, v16, 2.0, -v6
	v_fma_f32 v12, v13, 2.0, -v10
	;; [unrolled: 1-line block ×4, first 2 shown]
	ds_store_2addr_b64 v54, v[4:5], v[8:9] offset1:11
	ds_store_2addr_b64 v54, v[12:13], v[14:15] offset0:22 offset1:33
	ds_store_2addr_b64 v54, v[0:1], v[2:3] offset0:44 offset1:55
	ds_store_2addr_b64 v54, v[10:11], v[6:7] offset0:66 offset1:77
	global_wb scope:SCOPE_SE
	s_wait_dscnt 0x0
	s_barrier_signal -1
	s_barrier_wait -1
	global_inv scope:SCOPE_SE
	s_and_b32 exec_lo, exec_lo, vcc_lo
	s_cbranch_execz .LBB0_15
; %bb.14:
	s_clause 0xa
	global_load_b64 v[20:21], v50, s[12:13]
	global_load_b64 v[22:23], v50, s[12:13] offset:64
	global_load_b64 v[24:25], v50, s[12:13] offset:128
	;; [unrolled: 1-line block ×10, first 2 shown]
	ds_load_b64 v[50:51], v51
	v_mad_co_u64_u32 v[57:58], null, s2, v32, 0
	v_mad_co_u64_u32 v[59:60], null, s0, v39, 0
	;; [unrolled: 1-line block ×5, first 2 shown]
	ds_load_2addr_b64 v[4:7], v54 offset0:24 offset1:32
	v_mad_co_u64_u32 v[67:68], null, s0, v43, 0
	v_mad_co_u64_u32 v[69:70], null, s0, v44, 0
	;; [unrolled: 1-line block ×7, first 2 shown]
	ds_load_2addr_b64 v[0:3], v54 offset0:8 offset1:16
	ds_load_2addr_b64 v[8:11], v54 offset0:40 offset1:48
	;; [unrolled: 1-line block ×4, first 2 shown]
	v_mov_b32_e32 v54, v58
	v_mov_b32_e32 v58, v60
	;; [unrolled: 1-line block ×12, first 2 shown]
	s_mov_b32 s4, 0x745d1746
	s_mov_b32 s5, 0x3f8745d1
	s_wait_loadcnt 0x0
	v_mad_co_u64_u32 v[80:81], null, s3, v32, v[54:55]
	s_wait_dscnt 0x5
	v_mul_f32_e32 v32, v51, v21
	v_mul_f32_e32 v21, v50, v21
	v_mad_co_u64_u32 v[81:82], null, s1, v39, v[58:59]
	v_mad_co_u64_u32 v[39:40], null, s1, v40, v[60:61]
	v_mad_co_u64_u32 v[40:41], null, s1, v41, v[62:63]
	v_mad_co_u64_u32 v[41:42], null, s1, v42, v[64:65]
	v_mad_co_u64_u32 v[42:43], null, s1, v43, v[66:67]
	v_fmac_f32_e32 v32, v50, v20
	v_fma_f32 v20, v20, v51, -v21
	v_mov_b32_e32 v58, v80
	v_mov_b32_e32 v66, v41
	s_wait_dscnt 0x4
	v_mul_f32_e32 v41, v5, v27
	v_mul_f32_e32 v27, v4, v27
	v_mad_co_u64_u32 v[43:44], null, s1, v44, v[68:69]
	v_mad_co_u64_u32 v[44:45], null, s1, v45, v[70:71]
	s_delay_alu instid0(VALU_DEP_4) | instskip(SKIP_2) | instid1(VALU_DEP_4)
	v_dual_mov_b32 v62, v39 :: v_dual_fmac_f32 v41, v4, v26
	s_wait_dscnt 0x3
	v_mul_f32_e32 v39, v1, v23
	v_dual_mul_f32 v23, v0, v23 :: v_dual_mov_b32 v70, v43
	s_wait_dscnt 0x2
	v_mul_f32_e32 v43, v9, v31
	v_mul_f32_e32 v31, v8, v31
	v_mad_co_u64_u32 v[45:46], null, s1, v46, v[72:73]
	v_mad_co_u64_u32 v[46:47], null, s1, v47, v[74:75]
	;; [unrolled: 1-line block ×4, first 2 shown]
	s_wait_dscnt 0x0
	v_dual_mul_f32 v49, v19, v56 :: v_dual_mov_b32 v64, v40
	v_mul_f32_e32 v40, v3, v25
	v_dual_mul_f32 v25, v2, v25 :: v_dual_mov_b32 v74, v45
	s_delay_alu instid0(VALU_DEP_3)
	v_fmac_f32_e32 v49, v18, v55
	v_dual_mul_f32 v45, v13, v36 :: v_dual_mov_b32 v68, v42
	v_mul_f32_e32 v42, v7, v29
	v_dual_mul_f32 v29, v6, v29 :: v_dual_mov_b32 v60, v81
	v_fmac_f32_e32 v39, v0, v22
	v_mov_b32_e32 v72, v44
	v_mul_f32_e32 v44, v11, v34
	v_mul_f32_e32 v34, v10, v34
	v_fma_f32 v21, v22, v1, -v23
	v_mul_f32_e32 v36, v12, v36
	v_fmac_f32_e32 v40, v2, v24
	v_fma_f32 v22, v24, v3, -v25
	v_mov_b32_e32 v76, v46
	v_mul_f32_e32 v46, v15, v38
	v_mul_f32_e32 v38, v14, v38
	v_fma_f32 v23, v26, v5, -v27
	v_mov_b32_e32 v78, v47
	v_dual_mov_b32 v80, v48 :: v_dual_mul_f32 v47, v17, v53
	v_dual_mul_f32 v48, v16, v53 :: v_dual_mul_f32 v53, v18, v56
	v_fmac_f32_e32 v42, v6, v28
	v_fma_f32 v24, v28, v7, -v29
	v_fmac_f32_e32 v43, v8, v30
	v_fma_f32 v25, v30, v9, -v31
	v_cvt_f64_f32_e32 v[0:1], v32
	v_cvt_f64_f32_e32 v[2:3], v20
	v_fmac_f32_e32 v44, v10, v33
	v_fma_f32 v26, v33, v11, -v34
	v_cvt_f64_f32_e32 v[4:5], v39
	v_cvt_f64_f32_e32 v[6:7], v21
	;; [unrolled: 4-line block ×4, first 2 shown]
	v_fmac_f32_e32 v47, v16, v52
	v_fma_f32 v38, v52, v17, -v48
	v_fma_f32 v48, v55, v19, -v53
	v_cvt_f64_f32_e32 v[16:17], v42
	v_cvt_f64_f32_e32 v[18:19], v24
	;; [unrolled: 1-line block ×14, first 2 shown]
	v_lshlrev_b64_e32 v[44:45], 3, v[57:58]
	v_lshlrev_b64_e32 v[46:47], 3, v[59:60]
	;; [unrolled: 1-line block ×6, first 2 shown]
	v_add_co_u32 v68, vcc_lo, s8, v44
	s_wait_alu 0xfffe
	v_mul_f64_e32 v[0:1], s[4:5], v[0:1]
	v_mul_f64_e32 v[2:3], s[4:5], v[2:3]
	v_add_co_ci_u32_e32 v69, vcc_lo, s9, v45, vcc_lo
	v_mul_f64_e32 v[4:5], s[4:5], v[4:5]
	v_mul_f64_e32 v[6:7], s[4:5], v[6:7]
	v_add_co_u32 v44, vcc_lo, v68, v46
	v_mul_f64_e32 v[8:9], s[4:5], v[8:9]
	v_mul_f64_e32 v[10:11], s[4:5], v[10:11]
	s_wait_alu 0xfffd
	v_add_co_ci_u32_e32 v45, vcc_lo, v69, v47, vcc_lo
	v_mul_f64_e32 v[12:13], s[4:5], v[12:13]
	v_mul_f64_e32 v[14:15], s[4:5], v[14:15]
	v_lshlrev_b64_e32 v[52:53], 3, v[65:66]
	v_add_co_u32 v46, vcc_lo, v68, v48
	v_mul_f64_e32 v[16:17], s[4:5], v[16:17]
	v_mul_f64_e32 v[18:19], s[4:5], v[18:19]
	;; [unrolled: 1-line block ×14, first 2 shown]
	s_wait_alu 0xfffd
	v_add_co_ci_u32_e32 v47, vcc_lo, v69, v49, vcc_lo
	v_add_co_u32 v48, vcc_lo, v68, v50
	s_wait_alu 0xfffd
	v_add_co_ci_u32_e32 v49, vcc_lo, v69, v51, vcc_lo
	v_add_co_u32 v50, vcc_lo, v68, v52
	v_cvt_f32_f64_e32 v0, v[0:1]
	v_cvt_f32_f64_e32 v1, v[2:3]
	s_wait_alu 0xfffd
	v_add_co_ci_u32_e32 v51, vcc_lo, v69, v53, vcc_lo
	v_cvt_f32_f64_e32 v2, v[4:5]
	v_cvt_f32_f64_e32 v3, v[6:7]
	v_lshlrev_b64_e32 v[58:59], 3, v[71:72]
	v_cvt_f32_f64_e32 v4, v[8:9]
	v_cvt_f32_f64_e32 v5, v[10:11]
	v_lshlrev_b64_e32 v[60:61], 3, v[73:74]
	v_lshlrev_b64_e32 v[62:63], 3, v[75:76]
	v_cvt_f32_f64_e32 v6, v[12:13]
	v_cvt_f32_f64_e32 v7, v[14:15]
	v_lshlrev_b64_e32 v[64:65], 3, v[77:78]
	v_lshlrev_b64_e32 v[66:67], 3, v[79:80]
	v_cvt_f32_f64_e32 v8, v[16:17]
	v_cvt_f32_f64_e32 v9, v[18:19]
	;; [unrolled: 1-line block ×14, first 2 shown]
	v_add_co_u32 v22, vcc_lo, v68, v54
	s_wait_alu 0xfffd
	v_add_co_ci_u32_e32 v23, vcc_lo, v69, v55, vcc_lo
	v_add_co_u32 v24, vcc_lo, v68, v56
	s_wait_alu 0xfffd
	v_add_co_ci_u32_e32 v25, vcc_lo, v69, v57, vcc_lo
	;; [unrolled: 3-line block ×7, first 2 shown]
	s_clause 0xa
	global_store_b64 v[44:45], v[0:1], off
	global_store_b64 v[46:47], v[2:3], off
	;; [unrolled: 1-line block ×11, first 2 shown]
.LBB0_15:
	s_nop 0
	s_sendmsg sendmsg(MSG_DEALLOC_VGPRS)
	s_endpgm
	.section	.rodata,"a",@progbits
	.p2align	6, 0x0
	.amdhsa_kernel bluestein_single_fwd_len88_dim1_sp_op_CI_CI
		.amdhsa_group_segment_fixed_size 7744
		.amdhsa_private_segment_fixed_size 0
		.amdhsa_kernarg_size 104
		.amdhsa_user_sgpr_count 2
		.amdhsa_user_sgpr_dispatch_ptr 0
		.amdhsa_user_sgpr_queue_ptr 0
		.amdhsa_user_sgpr_kernarg_segment_ptr 1
		.amdhsa_user_sgpr_dispatch_id 0
		.amdhsa_user_sgpr_private_segment_size 0
		.amdhsa_wavefront_size32 1
		.amdhsa_uses_dynamic_stack 0
		.amdhsa_enable_private_segment 0
		.amdhsa_system_sgpr_workgroup_id_x 1
		.amdhsa_system_sgpr_workgroup_id_y 0
		.amdhsa_system_sgpr_workgroup_id_z 0
		.amdhsa_system_sgpr_workgroup_info 0
		.amdhsa_system_vgpr_workitem_id 0
		.amdhsa_next_free_vgpr 123
		.amdhsa_next_free_sgpr 14
		.amdhsa_reserve_vcc 1
		.amdhsa_float_round_mode_32 0
		.amdhsa_float_round_mode_16_64 0
		.amdhsa_float_denorm_mode_32 3
		.amdhsa_float_denorm_mode_16_64 3
		.amdhsa_fp16_overflow 0
		.amdhsa_workgroup_processor_mode 1
		.amdhsa_memory_ordered 1
		.amdhsa_forward_progress 0
		.amdhsa_round_robin_scheduling 0
		.amdhsa_exception_fp_ieee_invalid_op 0
		.amdhsa_exception_fp_denorm_src 0
		.amdhsa_exception_fp_ieee_div_zero 0
		.amdhsa_exception_fp_ieee_overflow 0
		.amdhsa_exception_fp_ieee_underflow 0
		.amdhsa_exception_fp_ieee_inexact 0
		.amdhsa_exception_int_div_zero 0
	.end_amdhsa_kernel
	.text
.Lfunc_end0:
	.size	bluestein_single_fwd_len88_dim1_sp_op_CI_CI, .Lfunc_end0-bluestein_single_fwd_len88_dim1_sp_op_CI_CI
                                        ; -- End function
	.section	.AMDGPU.csdata,"",@progbits
; Kernel info:
; codeLenInByte = 9464
; NumSgprs: 16
; NumVgprs: 123
; ScratchSize: 0
; MemoryBound: 0
; FloatMode: 240
; IeeeMode: 1
; LDSByteSize: 7744 bytes/workgroup (compile time only)
; SGPRBlocks: 1
; VGPRBlocks: 15
; NumSGPRsForWavesPerEU: 16
; NumVGPRsForWavesPerEU: 123
; Occupancy: 10
; WaveLimiterHint : 1
; COMPUTE_PGM_RSRC2:SCRATCH_EN: 0
; COMPUTE_PGM_RSRC2:USER_SGPR: 2
; COMPUTE_PGM_RSRC2:TRAP_HANDLER: 0
; COMPUTE_PGM_RSRC2:TGID_X_EN: 1
; COMPUTE_PGM_RSRC2:TGID_Y_EN: 0
; COMPUTE_PGM_RSRC2:TGID_Z_EN: 0
; COMPUTE_PGM_RSRC2:TIDIG_COMP_CNT: 0
	.text
	.p2alignl 7, 3214868480
	.fill 96, 4, 3214868480
	.type	__hip_cuid_d04b66c11c1baf29,@object ; @__hip_cuid_d04b66c11c1baf29
	.section	.bss,"aw",@nobits
	.globl	__hip_cuid_d04b66c11c1baf29
__hip_cuid_d04b66c11c1baf29:
	.byte	0                               ; 0x0
	.size	__hip_cuid_d04b66c11c1baf29, 1

	.ident	"AMD clang version 19.0.0git (https://github.com/RadeonOpenCompute/llvm-project roc-6.4.0 25133 c7fe45cf4b819c5991fe208aaa96edf142730f1d)"
	.section	".note.GNU-stack","",@progbits
	.addrsig
	.addrsig_sym __hip_cuid_d04b66c11c1baf29
	.amdgpu_metadata
---
amdhsa.kernels:
  - .args:
      - .actual_access:  read_only
        .address_space:  global
        .offset:         0
        .size:           8
        .value_kind:     global_buffer
      - .actual_access:  read_only
        .address_space:  global
        .offset:         8
        .size:           8
        .value_kind:     global_buffer
      - .actual_access:  read_only
        .address_space:  global
        .offset:         16
        .size:           8
        .value_kind:     global_buffer
      - .actual_access:  read_only
        .address_space:  global
        .offset:         24
        .size:           8
        .value_kind:     global_buffer
      - .actual_access:  read_only
        .address_space:  global
        .offset:         32
        .size:           8
        .value_kind:     global_buffer
      - .offset:         40
        .size:           8
        .value_kind:     by_value
      - .address_space:  global
        .offset:         48
        .size:           8
        .value_kind:     global_buffer
      - .address_space:  global
        .offset:         56
        .size:           8
        .value_kind:     global_buffer
      - .address_space:  global
        .offset:         64
        .size:           8
        .value_kind:     global_buffer
      - .address_space:  global
        .offset:         72
        .size:           8
        .value_kind:     global_buffer
      - .offset:         80
        .size:           4
        .value_kind:     by_value
      - .address_space:  global
        .offset:         88
        .size:           8
        .value_kind:     global_buffer
      - .address_space:  global
        .offset:         96
        .size:           8
        .value_kind:     global_buffer
    .group_segment_fixed_size: 7744
    .kernarg_segment_align: 8
    .kernarg_segment_size: 104
    .language:       OpenCL C
    .language_version:
      - 2
      - 0
    .max_flat_workgroup_size: 121
    .name:           bluestein_single_fwd_len88_dim1_sp_op_CI_CI
    .private_segment_fixed_size: 0
    .sgpr_count:     16
    .sgpr_spill_count: 0
    .symbol:         bluestein_single_fwd_len88_dim1_sp_op_CI_CI.kd
    .uniform_work_group_size: 1
    .uses_dynamic_stack: false
    .vgpr_count:     123
    .vgpr_spill_count: 0
    .wavefront_size: 32
    .workgroup_processor_mode: 1
amdhsa.target:   amdgcn-amd-amdhsa--gfx1201
amdhsa.version:
  - 1
  - 2
...

	.end_amdgpu_metadata
